;; amdgpu-corpus repo=ROCm/rocFFT kind=compiled arch=gfx1201 opt=O3
	.text
	.amdgcn_target "amdgcn-amd-amdhsa--gfx1201"
	.amdhsa_code_object_version 6
	.protected	fft_rtc_back_len512_factors_8_8_8_wgs_512_tpt_128_sp_op_CI_CI_sbrc_xy_z_aligned ; -- Begin function fft_rtc_back_len512_factors_8_8_8_wgs_512_tpt_128_sp_op_CI_CI_sbrc_xy_z_aligned
	.globl	fft_rtc_back_len512_factors_8_8_8_wgs_512_tpt_128_sp_op_CI_CI_sbrc_xy_z_aligned
	.p2align	8
	.type	fft_rtc_back_len512_factors_8_8_8_wgs_512_tpt_128_sp_op_CI_CI_sbrc_xy_z_aligned,@function
fft_rtc_back_len512_factors_8_8_8_wgs_512_tpt_128_sp_op_CI_CI_sbrc_xy_z_aligned: ; @fft_rtc_back_len512_factors_8_8_8_wgs_512_tpt_128_sp_op_CI_CI_sbrc_xy_z_aligned
; %bb.0:
	s_load_b128 s[4:7], s[0:1], 0x10
	s_mov_b32 s2, ttmp9
	s_mov_b64 s[22:23], 0
	s_wait_kmcnt 0x0
	s_load_b128 s[8:11], s[4:5], 0x8
	s_load_b128 s[12:15], s[6:7], 0x0
	s_wait_kmcnt 0x0
	s_add_co_i32 s3, s10, -1
	s_delay_alu instid0(SALU_CYCLE_1) | instskip(NEXT) | instid1(SALU_CYCLE_1)
	s_lshr_b32 s3, s3, 2
	s_add_co_i32 s3, s3, 1
	s_delay_alu instid0(SALU_CYCLE_1) | instskip(NEXT) | instid1(SALU_CYCLE_1)
	s_mul_i32 s10, s3, s8
	s_cvt_f32_u32 s3, s10
	s_sub_co_i32 s4, 0, s10
	s_delay_alu instid0(SALU_CYCLE_2) | instskip(NEXT) | instid1(TRANS32_DEP_1)
	v_rcp_iflag_f32_e32 v1, s3
	v_readfirstlane_b32 s3, v1
	v_cvt_f32_u32_e32 v1, s8
	s_delay_alu instid0(VALU_DEP_2) | instskip(SKIP_1) | instid1(SALU_CYCLE_2)
	s_mul_f32 s3, s3, 0x4f7ffffe
	s_wait_alu 0xfffe
	s_cvt_u32_f32 s3, s3
	s_wait_alu 0xfffe
	s_delay_alu instid0(SALU_CYCLE_2) | instskip(NEXT) | instid1(SALU_CYCLE_1)
	s_mul_i32 s4, s4, s3
	s_mul_hi_u32 s4, s3, s4
	s_delay_alu instid0(SALU_CYCLE_1) | instskip(SKIP_4) | instid1(SALU_CYCLE_1)
	s_add_co_i32 s3, s3, s4
	s_wait_alu 0xfffe
	s_mul_hi_u32 s3, ttmp9, s3
	s_wait_alu 0xfffe
	s_mul_i32 s4, s3, s10
	s_sub_co_i32 s11, ttmp9, s4
	s_load_b64 s[4:5], s[6:7], 0x10
	s_add_co_i32 s15, s3, 1
	s_sub_co_i32 s16, s11, s10
	s_cmp_ge_u32 s11, s10
	s_cselect_b32 s3, s15, s3
	s_wait_kmcnt 0x0
	s_cselect_b32 s5, s16, s11
	s_wait_alu 0xfffe
	s_add_co_i32 s11, s3, 1
	s_cmp_ge_u32 s5, s10
	s_cselect_b32 s16, s11, s3
	s_mov_b32 s3, 0
	s_mul_i32 s5, s16, s10
	s_wait_alu 0xfffe
	s_mov_b32 s11, s3
	s_sub_co_i32 s10, ttmp9, s5
	s_delay_alu instid0(SALU_CYCLE_1) | instskip(NEXT) | instid1(VALU_DEP_1)
	v_cmp_lt_u64_e64 s5, s[10:11], s[8:9]
	s_and_b32 vcc_lo, exec_lo, s5
	s_cbranch_vccnz .LBB0_2
; %bb.1:
	v_rcp_iflag_f32_e32 v2, v1
	s_sub_co_i32 s11, 0, s8
	s_delay_alu instid0(TRANS32_DEP_1) | instskip(NEXT) | instid1(VALU_DEP_1)
	v_mul_f32_e32 v2, 0x4f7ffffe, v2
	v_cvt_u32_f32_e32 v2, v2
	s_delay_alu instid0(VALU_DEP_1) | instskip(SKIP_1) | instid1(VALU_DEP_1)
	v_readfirstlane_b32 s5, v2
	s_wait_alu 0xfffe
	s_mul_i32 s11, s11, s5
	s_wait_alu 0xfffe
	s_mul_hi_u32 s11, s5, s11
	s_wait_alu 0xfffe
	s_add_co_i32 s5, s5, s11
	s_delay_alu instid0(SALU_CYCLE_1) | instskip(NEXT) | instid1(SALU_CYCLE_1)
	s_mul_hi_u32 s5, s10, s5
	s_mul_i32 s11, s5, s8
	s_wait_alu 0xfffe
	s_sub_co_i32 s10, s10, s11
	s_add_co_i32 s11, s5, 1
	s_wait_alu 0xfffe
	s_sub_co_i32 s15, s10, s8
	s_cmp_ge_u32 s10, s8
	s_cselect_b32 s5, s11, s5
	s_cselect_b32 s10, s15, s10
	s_add_co_i32 s11, s5, 1
	s_wait_alu 0xfffe
	s_cmp_ge_u32 s10, s8
	s_cselect_b32 s22, s11, s5
.LBB0_2:
	s_clause 0x1
	s_load_b64 s[18:19], s[0:1], 0x20
	s_load_b64 s[20:21], s[0:1], 0x58
	v_cmp_lt_u64_e64 s3, s[2:3], s[8:9]
	s_delay_alu instid0(VALU_DEP_1)
	s_and_b32 vcc_lo, exec_lo, s3
	s_cbranch_vccnz .LBB0_4
; %bb.3:
	v_rcp_iflag_f32_e32 v1, v1
	s_sub_co_i32 s5, 0, s8
	s_delay_alu instid0(TRANS32_DEP_1) | instskip(NEXT) | instid1(VALU_DEP_1)
	v_mul_f32_e32 v1, 0x4f7ffffe, v1
	v_cvt_u32_f32_e32 v1, v1
	s_delay_alu instid0(VALU_DEP_1) | instskip(NEXT) | instid1(VALU_DEP_1)
	v_readfirstlane_b32 s3, v1
	s_mul_i32 s5, s5, s3
	s_delay_alu instid0(SALU_CYCLE_1) | instskip(NEXT) | instid1(SALU_CYCLE_1)
	s_mul_hi_u32 s5, s3, s5
	s_add_co_i32 s3, s3, s5
	s_wait_alu 0xfffe
	s_mul_hi_u32 s3, s2, s3
	s_wait_alu 0xfffe
	s_mul_i32 s3, s3, s8
	s_wait_alu 0xfffe
	s_sub_co_i32 s2, s2, s3
	s_wait_alu 0xfffe
	s_sub_co_i32 s3, s2, s8
	s_cmp_ge_u32 s2, s8
	s_wait_alu 0xfffe
	s_cselect_b32 s2, s3, s2
	s_wait_alu 0xfffe
	s_sub_co_i32 s3, s2, s8
	s_cmp_ge_u32 s2, s8
	s_wait_alu 0xfffe
	s_cselect_b32 s2, s3, s2
.LBB0_4:
	s_load_b128 s[8:11], s[0:1], 0x0
	v_mad_co_u64_u32 v[1:2], null, s12, v0, 0
	s_mul_i32 s3, s2, s14
	v_lshlrev_b32_e32 v9, 2, v0
	v_and_b32_e32 v20, 0x7f, v0
	s_delay_alu instid0(VALU_DEP_2) | instskip(NEXT) | instid1(VALU_DEP_4)
	v_and_b32_e32 v9, 0x600, v9
	v_mad_co_u64_u32 v[2:3], null, s13, v0, v[2:3]
	s_mov_b32 s13, 0
	s_delay_alu instid0(VALU_DEP_3)
	v_lshlrev_b32_e32 v10, 3, v20
	s_wait_alu 0xfffe
	s_mov_b32 s17, s13
	s_mov_b32 s5, s13
	v_lshlrev_b32_e32 v19, 3, v9
	s_lshl_b64 s[14:15], s[4:5], 3
	v_lshlrev_b64_e32 v[1:2], 3, v[1:2]
	v_add_nc_u32_e32 v21, 0, v10
	s_wait_kmcnt 0x0
	s_lshl_b64 s[24:25], s[10:11], 3
	s_lshl_b32 s10, s22, 2
	s_add_nc_u64 s[6:7], s[6:7], s[24:25]
	s_wait_alu 0xfffe
	s_mul_i32 s11, s10, s4
	s_load_b64 s[6:7], s[6:7], 0x0
	s_add_co_i32 s12, s3, s11
	v_lshl_add_u32 v9, v0, 3, 0
	s_wait_alu 0xfffe
	s_lshl_b64 s[22:23], s[12:13], 3
	s_add_co_i32 s12, s4, s4
	v_add3_u32 v18, 0, v19, v10
	s_wait_alu 0xfffe
	s_lshl_b64 s[26:27], s[12:13], 3
	s_add_co_i32 s12, s12, s4
	v_add_nc_u32_e32 v17, v21, v19
	s_wait_kmcnt 0x0
	s_mul_u64 s[6:7], s[6:7], s[16:17]
	s_delay_alu instid0(SALU_CYCLE_1) | instskip(NEXT) | instid1(SALU_CYCLE_1)
	s_lshl_b64 s[6:7], s[6:7], 3
	s_add_nc_u64 s[6:7], s[20:21], s[6:7]
	s_delay_alu instid0(SALU_CYCLE_1) | instskip(NEXT) | instid1(SALU_CYCLE_1)
	s_add_nc_u64 s[4:5], s[6:7], s[22:23]
	v_add_co_u32 v1, vcc_lo, s4, v1
	v_add_co_ci_u32_e32 v2, vcc_lo, s5, v2, vcc_lo
	s_wait_alu 0xfffe
	s_lshl_b64 s[4:5], s[12:13], 3
	s_delay_alu instid0(VALU_DEP_2)
	v_add_co_u32 v3, vcc_lo, v1, s14
	s_wait_alu 0xfffd
	v_add_co_ci_u32_e32 v4, vcc_lo, s15, v2, vcc_lo
	v_add_co_u32 v5, vcc_lo, v1, s26
	s_wait_alu 0xfffd
	v_add_co_ci_u32_e32 v6, vcc_lo, s27, v2, vcc_lo
	s_wait_alu 0xfffe
	v_add_co_u32 v7, vcc_lo, v1, s4
	s_wait_alu 0xfffd
	v_add_co_ci_u32_e32 v8, vcc_lo, s5, v2, vcc_lo
	s_clause 0x3
	global_load_b64 v[1:2], v[1:2], off
	global_load_b64 v[3:4], v[3:4], off
	;; [unrolled: 1-line block ×4, first 2 shown]
	s_add_nc_u64 s[14:15], s[18:19], s[24:25]
	s_clause 0x2
	s_load_b128 s[4:7], s[18:19], 0x0
	s_load_b64 s[12:13], s[18:19], 0x10
	s_load_b64 s[14:15], s[14:15], 0x0
	s_wait_loadcnt 0x2
	ds_store_2addr_stride64_b64 v9, v[1:2], v[3:4] offset1:8
	s_wait_loadcnt 0x0
	ds_store_2addr_stride64_b64 v9, v[5:6], v[7:8] offset0:16 offset1:24
	global_wb scope:SCOPE_SE
	s_wait_dscnt 0x0
	s_wait_kmcnt 0x0
	s_barrier_signal -1
	s_barrier_wait -1
	global_inv scope:SCOPE_SE
	ds_load_b64 v[13:14], v18
	ds_load_2addr_stride64_b64 v[1:4], v17 offset0:3 offset1:4
	ds_load_2addr_stride64_b64 v[5:8], v17 offset0:1 offset1:2
	;; [unrolled: 1-line block ×3, first 2 shown]
	ds_load_b64 v[15:16], v17 offset:3584
	global_wb scope:SCOPE_SE
	s_wait_dscnt 0x0
	s_barrier_signal -1
	s_barrier_wait -1
	global_inv scope:SCOPE_SE
	v_dual_sub_f32 v4, v14, v4 :: v_dual_sub_f32 v3, v13, v3
	v_dual_sub_f32 v11, v7, v11 :: v_dual_sub_f32 v10, v6, v10
	;; [unrolled: 1-line block ×3, first 2 shown]
	v_sub_f32_e32 v12, v8, v12
	s_delay_alu instid0(VALU_DEP_3) | instskip(NEXT) | instid1(VALU_DEP_4)
	v_sub_f32_e32 v22, v4, v11
	v_fma_f32 v6, v6, 2.0, -v10
	s_delay_alu instid0(VALU_DEP_4)
	v_fma_f32 v2, v2, 2.0, -v16
	v_sub_f32_e32 v15, v1, v15
	v_fma_f32 v14, v14, 2.0, -v4
	v_fma_f32 v25, v4, 2.0, -v22
	;; [unrolled: 1-line block ×3, first 2 shown]
	v_sub_f32_e32 v4, v6, v2
	v_fma_f32 v1, v1, 2.0, -v15
	v_sub_f32_e32 v15, v10, v15
	v_fma_f32 v13, v13, 2.0, -v3
	v_fma_f32 v7, v7, 2.0, -v11
	;; [unrolled: 1-line block ×3, first 2 shown]
	v_add_f32_e32 v12, v3, v12
	v_fma_f32 v27, v10, 2.0, -v15
	v_sub_f32_e32 v23, v14, v8
	v_fma_f32 v10, v6, 2.0, -v4
	v_cmp_gt_u32_e32 vcc_lo, 64, v20
	v_fma_f32 v24, v3, 2.0, -v12
	v_dual_fmamk_f32 v8, v27, 0xbf3504f3, v25 :: v_dual_add_f32 v11, v9, v16
	v_fmamk_f32 v2, v15, 0x3f3504f3, v22
	v_sub_f32_e32 v16, v13, v7
	s_delay_alu instid0(VALU_DEP_3) | instskip(SKIP_2) | instid1(VALU_DEP_4)
	v_fma_f32 v26, v9, 2.0, -v11
	v_sub_f32_e32 v3, v5, v1
	v_fmamk_f32 v1, v11, 0x3f3504f3, v12
	v_fma_f32 v28, v13, 2.0, -v16
	v_fmac_f32_e32 v2, 0xbf3504f3, v11
	v_fmac_f32_e32 v8, 0xbf3504f3, v26
	v_fma_f32 v29, v14, 2.0, -v23
	v_fma_f32 v9, v5, 2.0, -v3
	v_dual_fmamk_f32 v7, v26, 0xbf3504f3, v24 :: v_dual_sub_f32 v6, v23, v3
	s_delay_alu instid0(VALU_DEP_3) | instskip(SKIP_1) | instid1(VALU_DEP_4)
	v_dual_add_f32 v5, v16, v4 :: v_dual_sub_f32 v10, v29, v10
	v_fmac_f32_e32 v1, 0x3f3504f3, v15
	v_sub_f32_e32 v9, v28, v9
	s_delay_alu instid0(VALU_DEP_4) | instskip(NEXT) | instid1(VALU_DEP_4)
	v_fmac_f32_e32 v7, 0x3f3504f3, v27
	v_fma_f32 v13, v16, 2.0, -v5
	v_fma_f32 v14, v23, 2.0, -v6
	v_fma_f32 v11, v12, 2.0, -v1
	v_fma_f32 v12, v22, 2.0, -v2
	v_fma_f32 v3, v28, 2.0, -v9
	v_fma_f32 v4, v29, 2.0, -v10
	v_fma_f32 v15, v24, 2.0, -v7
	v_fma_f32 v16, v25, 2.0, -v8
	s_and_saveexec_b32 s3, vcc_lo
	s_cbranch_execz .LBB0_6
; %bb.5:
	v_mul_u32_u24_e32 v20, 56, v20
	s_delay_alu instid0(VALU_DEP_1)
	v_add3_u32 v20, v21, v20, v19
	ds_store_2addr_b64 v20, v[3:4], v[15:16] offset1:1
	ds_store_2addr_b64 v20, v[13:14], v[11:12] offset0:2 offset1:3
	ds_store_2addr_b64 v20, v[9:10], v[7:8] offset0:4 offset1:5
	;; [unrolled: 1-line block ×3, first 2 shown]
.LBB0_6:
	s_wait_alu 0xfffe
	s_or_b32 exec_lo, exec_lo, s3
	global_wb scope:SCOPE_SE
	s_wait_dscnt 0x0
	s_barrier_signal -1
	s_barrier_wait -1
	global_inv scope:SCOPE_SE
	s_and_saveexec_b32 s3, vcc_lo
	s_cbranch_execz .LBB0_8
; %bb.7:
	ds_load_2addr_stride64_b64 v[7:10], v17 offset0:5 offset1:6
	ds_load_2addr_stride64_b64 v[11:14], v17 offset0:3 offset1:4
	;; [unrolled: 1-line block ×3, first 2 shown]
	ds_load_b64 v[3:4], v18
	ds_load_b64 v[1:2], v17 offset:3584
	s_wait_dscnt 0x4
	v_dual_mov_b32 v6, v10 :: v_dual_mov_b32 v5, v9
	s_wait_dscnt 0x3
	v_dual_mov_b32 v10, v14 :: v_dual_mov_b32 v9, v13
	;; [unrolled: 2-line block ×3, first 2 shown]
	v_dual_mov_b32 v16, v21 :: v_dual_mov_b32 v15, v20
.LBB0_8:
	s_wait_alu 0xfffe
	s_or_b32 exec_lo, exec_lo, s3
	v_and_b32_e32 v20, 7, v0
	s_delay_alu instid0(VALU_DEP_1) | instskip(NEXT) | instid1(VALU_DEP_1)
	v_mul_u32_u24_e32 v21, 7, v20
	v_lshlrev_b32_e32 v33, 3, v21
	s_clause 0x3
	global_load_b128 v[21:24], v33, s[8:9]
	global_load_b128 v[25:28], v33, s[8:9] offset:16
	global_load_b128 v[29:32], v33, s[8:9] offset:32
	global_load_b64 v[33:34], v33, s[8:9] offset:48
	global_wb scope:SCOPE_SE
	s_wait_loadcnt_dscnt 0x0
	s_barrier_signal -1
	s_barrier_wait -1
	global_inv scope:SCOPE_SE
	v_mul_f32_e32 v35, v16, v22
	v_mul_f32_e32 v22, v15, v22
	v_dual_mul_f32 v36, v14, v24 :: v_dual_mul_f32 v37, v12, v26
	v_dual_mul_f32 v24, v13, v24 :: v_dual_mul_f32 v39, v8, v30
	s_delay_alu instid0(VALU_DEP_4)
	v_dual_mul_f32 v38, v10, v28 :: v_dual_fmac_f32 v35, v15, v21
	v_dual_mul_f32 v28, v9, v28 :: v_dual_mul_f32 v41, v2, v34
	v_mul_f32_e32 v26, v11, v26
	v_dual_mul_f32 v40, v6, v32 :: v_dual_fmac_f32 v37, v11, v25
	v_dual_mul_f32 v32, v5, v32 :: v_dual_fmac_f32 v39, v7, v29
	v_mul_f32_e32 v34, v1, v34
	v_fmac_f32_e32 v38, v9, v27
	v_fma_f32 v9, v10, v27, -v28
	v_fma_f32 v15, v16, v21, -v22
	v_fmac_f32_e32 v40, v5, v31
	v_fma_f32 v5, v6, v31, -v32
	v_fmac_f32_e32 v41, v1, v33
	v_fma_f32 v11, v12, v25, -v26
	v_dual_sub_f32 v6, v4, v9 :: v_dual_sub_f32 v9, v35, v39
	v_fma_f32 v1, v2, v33, -v34
	v_fmac_f32_e32 v36, v13, v23
	v_fma_f32 v13, v14, v23, -v24
	v_mul_f32_e32 v30, v7, v30
	v_fma_f32 v14, v35, 2.0, -v9
	v_sub_f32_e32 v1, v11, v1
	s_delay_alu instid0(VALU_DEP_4) | instskip(NEXT) | instid1(VALU_DEP_4)
	v_sub_f32_e32 v5, v13, v5
	v_fma_f32 v7, v8, v29, -v30
	s_delay_alu instid0(VALU_DEP_3) | instskip(NEXT) | instid1(VALU_DEP_3)
	v_fma_f32 v11, v11, 2.0, -v1
	v_fma_f32 v13, v13, 2.0, -v5
	s_delay_alu instid0(VALU_DEP_3) | instskip(SKIP_1) | instid1(VALU_DEP_2)
	v_sub_f32_e32 v7, v15, v7
	v_fma_f32 v4, v4, 2.0, -v6
	v_fma_f32 v21, v15, 2.0, -v7
	s_delay_alu instid0(VALU_DEP_2) | instskip(NEXT) | instid1(VALU_DEP_2)
	v_dual_sub_f32 v2, v3, v38 :: v_dual_sub_f32 v13, v4, v13
	v_sub_f32_e32 v11, v21, v11
	s_delay_alu instid0(VALU_DEP_2) | instskip(SKIP_1) | instid1(VALU_DEP_4)
	v_add_f32_e32 v5, v2, v5
	v_fma_f32 v3, v3, 2.0, -v2
	v_fma_f32 v27, v4, 2.0, -v13
	s_delay_alu instid0(VALU_DEP_3) | instskip(SKIP_1) | instid1(VALU_DEP_1)
	v_fma_f32 v23, v2, 2.0, -v5
	v_sub_f32_e32 v8, v36, v40
	v_fma_f32 v12, v36, 2.0, -v8
	s_delay_alu instid0(VALU_DEP_1) | instskip(SKIP_3) | instid1(VALU_DEP_4)
	v_sub_f32_e32 v12, v3, v12
	v_sub_f32_e32 v22, v6, v8
	v_add_f32_e32 v8, v9, v1
	v_sub_f32_e32 v10, v37, v41
	v_fma_f32 v26, v3, 2.0, -v12
	s_delay_alu instid0(VALU_DEP_2) | instskip(NEXT) | instid1(VALU_DEP_1)
	v_fma_f32 v15, v37, 2.0, -v10
	v_dual_sub_f32 v24, v14, v15 :: v_dual_fmamk_f32 v15, v8, 0x3f3504f3, v5
	v_sub_f32_e32 v10, v7, v10
	s_delay_alu instid0(VALU_DEP_2) | instskip(NEXT) | instid1(VALU_DEP_2)
	v_sub_f32_e32 v4, v13, v24
	v_fma_f32 v25, v7, 2.0, -v10
	v_fma_f32 v7, v14, 2.0, -v24
	;; [unrolled: 1-line block ×3, first 2 shown]
	s_delay_alu instid0(VALU_DEP_2) | instskip(SKIP_2) | instid1(VALU_DEP_2)
	v_sub_f32_e32 v7, v26, v7
	v_fmac_f32_e32 v15, 0x3f3504f3, v10
	v_fma_f32 v9, v9, 2.0, -v8
	v_fma_f32 v5, v5, 2.0, -v15
	s_delay_alu instid0(VALU_DEP_2) | instskip(NEXT) | instid1(VALU_DEP_1)
	v_fmamk_f32 v1, v9, 0xbf3504f3, v23
	v_fmac_f32_e32 v1, 0x3f3504f3, v25
	v_add_f32_e32 v3, v12, v11
	v_fma_f32 v6, v6, 2.0, -v22
	v_fmamk_f32 v16, v10, 0x3f3504f3, v22
	s_delay_alu instid0(VALU_DEP_3) | instskip(NEXT) | instid1(VALU_DEP_3)
	v_fma_f32 v11, v12, 2.0, -v3
	v_fmamk_f32 v2, v25, 0xbf3504f3, v6
	s_delay_alu instid0(VALU_DEP_3)
	v_fmac_f32_e32 v16, 0xbf3504f3, v8
	v_sub_f32_e32 v8, v27, v14
	v_fma_f32 v12, v13, 2.0, -v4
	v_fma_f32 v13, v26, 2.0, -v7
	v_fmac_f32_e32 v2, 0xbf3504f3, v9
	v_fma_f32 v9, v23, 2.0, -v1
	v_fma_f32 v14, v27, 2.0, -v8
	s_delay_alu instid0(VALU_DEP_3)
	v_fma_f32 v10, v6, 2.0, -v2
	v_fma_f32 v6, v22, 2.0, -v16
	s_and_saveexec_b32 s3, vcc_lo
	s_cbranch_execz .LBB0_10
; %bb.9:
	v_lshlrev_b32_e32 v21, 3, v0
	s_delay_alu instid0(VALU_DEP_1) | instskip(NEXT) | instid1(VALU_DEP_1)
	v_and_or_b32 v20, 0x1c0, v21, v20
	v_lshlrev_b32_e32 v20, 3, v20
	s_delay_alu instid0(VALU_DEP_1)
	v_add3_u32 v19, 0, v20, v19
	ds_store_2addr_b64 v19, v[13:14], v[9:10] offset1:8
	ds_store_2addr_b64 v19, v[11:12], v[5:6] offset0:16 offset1:24
	ds_store_2addr_b64 v19, v[7:8], v[1:2] offset0:32 offset1:40
	;; [unrolled: 1-line block ×3, first 2 shown]
.LBB0_10:
	s_wait_alu 0xfffe
	s_or_b32 exec_lo, exec_lo, s3
	global_wb scope:SCOPE_SE
	s_wait_dscnt 0x0
	s_barrier_signal -1
	s_barrier_wait -1
	global_inv scope:SCOPE_SE
	s_and_saveexec_b32 s3, vcc_lo
	s_cbranch_execz .LBB0_12
; %bb.11:
	ds_load_b64 v[13:14], v18
	ds_load_2addr_stride64_b64 v[9:12], v17 offset0:1 offset1:2
	ds_load_2addr_stride64_b64 v[5:8], v17 offset0:3 offset1:4
	;; [unrolled: 1-line block ×3, first 2 shown]
	ds_load_b64 v[15:16], v17 offset:3584
.LBB0_12:
	s_wait_alu 0xfffe
	s_or_b32 exec_lo, exec_lo, s3
	s_load_b64 s[0:1], s[0:1], 0x60
	global_wb scope:SCOPE_SE
	s_wait_dscnt 0x0
	s_wait_kmcnt 0x0
	s_barrier_signal -1
	s_barrier_wait -1
	global_inv scope:SCOPE_SE
	s_and_saveexec_b32 s3, vcc_lo
	s_cbranch_execz .LBB0_14
; %bb.13:
	v_and_b32_e32 v19, 63, v0
	s_delay_alu instid0(VALU_DEP_1) | instskip(NEXT) | instid1(VALU_DEP_1)
	v_mul_u32_u24_e32 v19, 7, v19
	v_lshlrev_b32_e32 v31, 3, v19
	s_clause 0x3
	global_load_b128 v[19:22], v31, s[8:9] offset:464
	global_load_b128 v[23:26], v31, s[8:9] offset:448
	;; [unrolled: 1-line block ×3, first 2 shown]
	global_load_b64 v[31:32], v31, s[8:9] offset:496
	s_wait_loadcnt 0x3
	v_dual_mul_f32 v33, v7, v22 :: v_dual_mul_f32 v38, v6, v20
	s_wait_loadcnt 0x2
	v_mul_f32_e32 v34, v12, v26
	s_wait_loadcnt 0x1
	v_dual_mul_f32 v35, v4, v30 :: v_dual_mul_f32 v20, v5, v20
	v_mul_f32_e32 v36, v9, v24
	v_dual_mul_f32 v37, v1, v28 :: v_dual_mul_f32 v26, v11, v26
	s_wait_loadcnt 0x0
	v_dual_mul_f32 v39, v16, v32 :: v_dual_mul_f32 v30, v3, v30
	v_mul_f32_e32 v28, v2, v28
	v_mul_f32_e32 v22, v8, v22
	v_dual_mul_f32 v24, v10, v24 :: v_dual_fmac_f32 v35, v3, v29
	v_fma_f32 v3, v10, v23, -v36
	v_fma_f32 v2, v2, v27, -v37
	v_fmac_f32_e32 v38, v5, v19
	v_fmac_f32_e32 v39, v15, v31
	;; [unrolled: 1-line block ×3, first 2 shown]
	v_fma_f32 v1, v12, v25, -v26
	v_fma_f32 v4, v4, v29, -v30
	v_fmac_f32_e32 v22, v7, v21
	v_mul_f32_e32 v32, v15, v32
	v_fma_f32 v5, v6, v19, -v20
	v_fma_f32 v8, v8, v21, -v33
	v_sub_f32_e32 v4, v1, v4
	v_dual_fmac_f32 v24, v9, v23 :: v_dual_sub_f32 v9, v3, v2
	v_sub_f32_e32 v2, v38, v39
	v_dual_fmac_f32 v34, v11, v25 :: v_dual_sub_f32 v11, v13, v22
	v_fma_f32 v6, v16, v31, -v32
	v_sub_f32_e32 v7, v14, v8
	s_delay_alu instid0(VALU_DEP_4) | instskip(SKIP_1) | instid1(VALU_DEP_4)
	v_sub_f32_e32 v15, v9, v2
	v_fma_f32 v21, v38, 2.0, -v2
	v_dual_add_f32 v19, v11, v4 :: v_dual_sub_f32 v6, v5, v6
	v_fma_f32 v4, v1, 2.0, -v4
	v_fma_f32 v22, v3, 2.0, -v9
	;; [unrolled: 1-line block ×3, first 2 shown]
	s_delay_alu instid0(VALU_DEP_4) | instskip(SKIP_4) | instid1(VALU_DEP_4)
	v_fma_f32 v26, v11, 2.0, -v19
	v_sub_f32_e32 v10, v24, v28
	v_fma_f32 v13, v13, 2.0, -v11
	v_fma_f32 v9, v9, 2.0, -v15
	v_sub_f32_e32 v23, v14, v4
	v_add_f32_e32 v16, v10, v6
	s_delay_alu instid0(VALU_DEP_1) | instskip(SKIP_1) | instid1(VALU_DEP_2)
	v_fmamk_f32 v1, v16, 0x3f3504f3, v19
	v_fma_f32 v25, v10, 2.0, -v16
	v_fmac_f32_e32 v1, 0x3f3504f3, v15
	v_fma_f32 v3, v5, 2.0, -v6
	s_delay_alu instid0(VALU_DEP_3) | instskip(SKIP_1) | instid1(VALU_DEP_2)
	v_fmamk_f32 v5, v25, 0xbf3504f3, v26
	v_fma_f32 v20, v24, 2.0, -v10
	v_dual_sub_f32 v8, v34, v35 :: v_dual_fmac_f32 v5, 0x3f3504f3, v9
	s_delay_alu instid0(VALU_DEP_1) | instskip(SKIP_1) | instid1(VALU_DEP_2)
	v_dual_sub_f32 v21, v20, v21 :: v_dual_sub_f32 v12, v7, v8
	v_fma_f32 v8, v34, 2.0, -v8
	v_sub_f32_e32 v4, v23, v21
	s_delay_alu instid0(VALU_DEP_3) | instskip(NEXT) | instid1(VALU_DEP_3)
	v_fmamk_f32 v2, v15, 0x3f3504f3, v12
	v_sub_f32_e32 v24, v13, v8
	v_sub_f32_e32 v8, v22, v3
	v_fma_f32 v7, v7, 2.0, -v12
	v_fma_f32 v15, v14, 2.0, -v23
	v_fmac_f32_e32 v2, 0xbf3504f3, v16
	v_fma_f32 v13, v13, 2.0, -v24
	v_fma_f32 v11, v22, 2.0, -v8
	;; [unrolled: 1-line block ×3, first 2 shown]
	v_dual_fmamk_f32 v6, v9, 0xbf3504f3, v7 :: v_dual_add_f32 v3, v24, v8
	v_fma_f32 v8, v12, 2.0, -v2
	s_delay_alu instid0(VALU_DEP_3) | instskip(NEXT) | instid1(VALU_DEP_3)
	v_dual_sub_f32 v12, v15, v11 :: v_dual_sub_f32 v11, v13, v14
	v_fmac_f32_e32 v6, 0xbf3504f3, v25
	v_fma_f32 v10, v23, 2.0, -v4
	v_fma_f32 v9, v24, 2.0, -v3
	s_delay_alu instid0(VALU_DEP_4)
	v_fma_f32 v16, v15, 2.0, -v12
	v_fma_f32 v15, v13, 2.0, -v11
	;; [unrolled: 1-line block ×5, first 2 shown]
	ds_store_b64 v18, v[15:16]
	ds_store_2addr_stride64_b64 v17, v[13:14], v[9:10] offset0:1 offset1:2
	ds_store_2addr_stride64_b64 v17, v[7:8], v[11:12] offset0:3 offset1:4
	;; [unrolled: 1-line block ×3, first 2 shown]
	ds_store_b64 v17, v[1:2] offset:3584
.LBB0_14:
	s_wait_alu 0xfffe
	s_or_b32 exec_lo, exec_lo, s3
	v_dual_mov_b32 v5, 0 :: v_dual_and_b32 v6, 3, v0
	v_lshrrev_b32_e32 v7, 2, v0
	s_mov_b32 s3, 0
	s_mul_i32 s2, s2, s12
	s_delay_alu instid0(VALU_DEP_2)
	v_mad_co_u64_u32 v[1:2], null, s4, v6, 0
	s_wait_alu 0xfffe
	s_mov_b32 s11, s3
	v_mul_lo_u32 v4, v7, s6
	s_wait_alu 0xfffe
	s_mul_u64 s[10:11], s[4:5], s[10:11]
	s_mul_u64 s[8:9], s[14:15], s[16:17]
	s_lshl_b64 s[2:3], s[2:3], 3
	s_lshl_b32 s12, s6, 7
	v_mov_b32_e32 v0, v2
	s_wait_alu 0xfffe
	s_lshl_b64 s[6:7], s[8:9], 3
	global_wb scope:SCOPE_SE
	s_wait_dscnt 0x0
	s_barrier_signal -1
	s_barrier_wait -1
	v_mad_co_u64_u32 v[2:3], null, s5, v6, v[0:1]
	v_lshlrev_b32_e32 v3, 3, v7
	v_lshlrev_b32_e32 v0, 12, v6
	s_lshl_b64 s[4:5], s[10:11], 3
	v_lshlrev_b64_e32 v[6:7], 3, v[4:5]
	s_wait_alu 0xfffe
	s_add_nc_u64 s[0:1], s[0:1], s[4:5]
	v_add_nc_u32_e32 v4, s12, v4
	v_or_b32_e32 v8, v0, v3
	v_add3_u32 v12, 0, v0, v3
	v_lshlrev_b64_e32 v[0:1], 3, v[1:2]
	s_add_nc_u64 s[0:1], s[0:1], s[2:3]
	global_inv scope:SCOPE_SE
	v_add_nc_u32_e32 v10, 0, v8
	s_add_nc_u64 s[0:1], s[0:1], s[6:7]
	v_lshlrev_b64_e32 v[8:9], 3, v[4:5]
	v_add_co_u32 v16, vcc_lo, s0, v0
	v_add_nc_u32_e32 v4, s12, v4
	s_wait_alu 0xfffd
	v_add_co_ci_u32_e32 v17, vcc_lo, s1, v1, vcc_lo
	ds_load_2addr_stride64_b64 v[0:3], v10 offset1:2
	ds_load_b64 v[10:11], v10 offset:2048
	ds_load_b64 v[12:13], v12 offset:3072
	v_lshlrev_b64_e32 v[14:15], 3, v[4:5]
	v_add_nc_u32_e32 v4, s12, v4
	v_add_co_u32 v6, vcc_lo, v16, v6
	s_wait_alu 0xfffd
	v_add_co_ci_u32_e32 v7, vcc_lo, v17, v7, vcc_lo
	v_add_co_u32 v8, vcc_lo, v16, v8
	v_lshlrev_b64_e32 v[4:5], 3, v[4:5]
	s_wait_alu 0xfffd
	v_add_co_ci_u32_e32 v9, vcc_lo, v17, v9, vcc_lo
	v_add_co_u32 v14, vcc_lo, v16, v14
	s_wait_alu 0xfffd
	v_add_co_ci_u32_e32 v15, vcc_lo, v17, v15, vcc_lo
	v_add_co_u32 v4, vcc_lo, v16, v4
	s_wait_alu 0xfffd
	v_add_co_ci_u32_e32 v5, vcc_lo, v17, v5, vcc_lo
	s_wait_dscnt 0x2
	s_clause 0x1
	global_store_b64 v[6:7], v[0:1], off
	global_store_b64 v[8:9], v[2:3], off
	s_wait_dscnt 0x1
	global_store_b64 v[14:15], v[10:11], off
	s_wait_dscnt 0x0
	global_store_b64 v[4:5], v[12:13], off
	s_nop 0
	s_sendmsg sendmsg(MSG_DEALLOC_VGPRS)
	s_endpgm
	.section	.rodata,"a",@progbits
	.p2align	6, 0x0
	.amdhsa_kernel fft_rtc_back_len512_factors_8_8_8_wgs_512_tpt_128_sp_op_CI_CI_sbrc_xy_z_aligned
		.amdhsa_group_segment_fixed_size 0
		.amdhsa_private_segment_fixed_size 0
		.amdhsa_kernarg_size 104
		.amdhsa_user_sgpr_count 2
		.amdhsa_user_sgpr_dispatch_ptr 0
		.amdhsa_user_sgpr_queue_ptr 0
		.amdhsa_user_sgpr_kernarg_segment_ptr 1
		.amdhsa_user_sgpr_dispatch_id 0
		.amdhsa_user_sgpr_private_segment_size 0
		.amdhsa_wavefront_size32 1
		.amdhsa_uses_dynamic_stack 0
		.amdhsa_enable_private_segment 0
		.amdhsa_system_sgpr_workgroup_id_x 1
		.amdhsa_system_sgpr_workgroup_id_y 0
		.amdhsa_system_sgpr_workgroup_id_z 0
		.amdhsa_system_sgpr_workgroup_info 0
		.amdhsa_system_vgpr_workitem_id 0
		.amdhsa_next_free_vgpr 42
		.amdhsa_next_free_sgpr 28
		.amdhsa_reserve_vcc 1
		.amdhsa_float_round_mode_32 0
		.amdhsa_float_round_mode_16_64 0
		.amdhsa_float_denorm_mode_32 3
		.amdhsa_float_denorm_mode_16_64 3
		.amdhsa_fp16_overflow 0
		.amdhsa_workgroup_processor_mode 1
		.amdhsa_memory_ordered 1
		.amdhsa_forward_progress 0
		.amdhsa_round_robin_scheduling 0
		.amdhsa_exception_fp_ieee_invalid_op 0
		.amdhsa_exception_fp_denorm_src 0
		.amdhsa_exception_fp_ieee_div_zero 0
		.amdhsa_exception_fp_ieee_overflow 0
		.amdhsa_exception_fp_ieee_underflow 0
		.amdhsa_exception_fp_ieee_inexact 0
		.amdhsa_exception_int_div_zero 0
	.end_amdhsa_kernel
	.text
.Lfunc_end0:
	.size	fft_rtc_back_len512_factors_8_8_8_wgs_512_tpt_128_sp_op_CI_CI_sbrc_xy_z_aligned, .Lfunc_end0-fft_rtc_back_len512_factors_8_8_8_wgs_512_tpt_128_sp_op_CI_CI_sbrc_xy_z_aligned
                                        ; -- End function
	.section	.AMDGPU.csdata,"",@progbits
; Kernel info:
; codeLenInByte = 3460
; NumSgprs: 30
; NumVgprs: 42
; ScratchSize: 0
; MemoryBound: 0
; FloatMode: 240
; IeeeMode: 1
; LDSByteSize: 0 bytes/workgroup (compile time only)
; SGPRBlocks: 3
; VGPRBlocks: 5
; NumSGPRsForWavesPerEU: 30
; NumVGPRsForWavesPerEU: 42
; Occupancy: 16
; WaveLimiterHint : 1
; COMPUTE_PGM_RSRC2:SCRATCH_EN: 0
; COMPUTE_PGM_RSRC2:USER_SGPR: 2
; COMPUTE_PGM_RSRC2:TRAP_HANDLER: 0
; COMPUTE_PGM_RSRC2:TGID_X_EN: 1
; COMPUTE_PGM_RSRC2:TGID_Y_EN: 0
; COMPUTE_PGM_RSRC2:TGID_Z_EN: 0
; COMPUTE_PGM_RSRC2:TIDIG_COMP_CNT: 0
	.text
	.p2alignl 7, 3214868480
	.fill 96, 4, 3214868480
	.type	__hip_cuid_c44f03f45069d235,@object ; @__hip_cuid_c44f03f45069d235
	.section	.bss,"aw",@nobits
	.globl	__hip_cuid_c44f03f45069d235
__hip_cuid_c44f03f45069d235:
	.byte	0                               ; 0x0
	.size	__hip_cuid_c44f03f45069d235, 1

	.ident	"AMD clang version 19.0.0git (https://github.com/RadeonOpenCompute/llvm-project roc-6.4.0 25133 c7fe45cf4b819c5991fe208aaa96edf142730f1d)"
	.section	".note.GNU-stack","",@progbits
	.addrsig
	.addrsig_sym __hip_cuid_c44f03f45069d235
	.amdgpu_metadata
---
amdhsa.kernels:
  - .args:
      - .actual_access:  read_only
        .address_space:  global
        .offset:         0
        .size:           8
        .value_kind:     global_buffer
      - .offset:         8
        .size:           8
        .value_kind:     by_value
      - .actual_access:  read_only
        .address_space:  global
        .offset:         16
        .size:           8
        .value_kind:     global_buffer
      - .actual_access:  read_only
        .address_space:  global
        .offset:         24
        .size:           8
        .value_kind:     global_buffer
      - .actual_access:  read_only
        .address_space:  global
        .offset:         32
        .size:           8
        .value_kind:     global_buffer
      - .offset:         40
        .size:           8
        .value_kind:     by_value
      - .actual_access:  read_only
        .address_space:  global
        .offset:         48
        .size:           8
        .value_kind:     global_buffer
      - .actual_access:  read_only
        .address_space:  global
        .offset:         56
        .size:           8
        .value_kind:     global_buffer
      - .offset:         64
        .size:           4
        .value_kind:     by_value
      - .actual_access:  read_only
        .address_space:  global
        .offset:         72
        .size:           8
        .value_kind:     global_buffer
      - .actual_access:  read_only
        .address_space:  global
        .offset:         80
        .size:           8
        .value_kind:     global_buffer
      - .actual_access:  read_only
        .address_space:  global
        .offset:         88
        .size:           8
        .value_kind:     global_buffer
      - .actual_access:  write_only
        .address_space:  global
        .offset:         96
        .size:           8
        .value_kind:     global_buffer
    .group_segment_fixed_size: 0
    .kernarg_segment_align: 8
    .kernarg_segment_size: 104
    .language:       OpenCL C
    .language_version:
      - 2
      - 0
    .max_flat_workgroup_size: 512
    .name:           fft_rtc_back_len512_factors_8_8_8_wgs_512_tpt_128_sp_op_CI_CI_sbrc_xy_z_aligned
    .private_segment_fixed_size: 0
    .sgpr_count:     30
    .sgpr_spill_count: 0
    .symbol:         fft_rtc_back_len512_factors_8_8_8_wgs_512_tpt_128_sp_op_CI_CI_sbrc_xy_z_aligned.kd
    .uniform_work_group_size: 1
    .uses_dynamic_stack: false
    .vgpr_count:     42
    .vgpr_spill_count: 0
    .wavefront_size: 32
    .workgroup_processor_mode: 1
amdhsa.target:   amdgcn-amd-amdhsa--gfx1201
amdhsa.version:
  - 1
  - 2
...

	.end_amdgpu_metadata
